;; amdgpu-corpus repo=ROCm/rocFFT kind=compiled arch=gfx906 opt=O3
	.text
	.amdgcn_target "amdgcn-amd-amdhsa--gfx906"
	.amdhsa_code_object_version 6
	.protected	bluestein_single_fwd_len1215_dim1_sp_op_CI_CI ; -- Begin function bluestein_single_fwd_len1215_dim1_sp_op_CI_CI
	.globl	bluestein_single_fwd_len1215_dim1_sp_op_CI_CI
	.p2align	8
	.type	bluestein_single_fwd_len1215_dim1_sp_op_CI_CI,@function
bluestein_single_fwd_len1215_dim1_sp_op_CI_CI: ; @bluestein_single_fwd_len1215_dim1_sp_op_CI_CI
; %bb.0:
	s_load_dwordx4 s[0:3], s[4:5], 0x28
	v_mul_u32_u24_e32 v1, 0x10e, v0
	v_add_u32_sdwa v40, s6, v1 dst_sel:DWORD dst_unused:UNUSED_PAD src0_sel:DWORD src1_sel:WORD_1
	v_mov_b32_e32 v41, 0
	s_waitcnt lgkmcnt(0)
	v_cmp_gt_u64_e32 vcc, s[0:1], v[40:41]
	s_and_saveexec_b64 s[0:1], vcc
	s_cbranch_execz .LBB0_42
; %bb.1:
	s_load_dwordx4 s[8:11], s[4:5], 0x18
	s_load_dwordx4 s[12:15], s[4:5], 0x0
	s_movk_i32 s0, 0xf3
	v_mul_lo_u16_sdwa v1, v1, s0 dst_sel:DWORD dst_unused:UNUSED_PAD src0_sel:WORD_1 src1_sel:DWORD
	v_sub_u16_e32 v64, v0, v1
	s_waitcnt lgkmcnt(0)
	s_load_dwordx4 s[16:19], s[8:9], 0x0
	v_lshlrev_b32_e32 v63, 3, v64
	s_movk_i32 s6, 0x1000
	s_load_dwordx2 s[4:5], s[4:5], 0x38
	s_waitcnt lgkmcnt(0)
	v_mad_u64_u32 v[0:1], s[0:1], s18, v40, 0
	v_mad_u64_u32 v[2:3], s[0:1], s16, v64, 0
	;; [unrolled: 1-line block ×4, first 2 shown]
	v_mov_b32_e32 v1, v4
	v_lshlrev_b64 v[0:1], 3, v[0:1]
	v_mov_b32_e32 v6, s3
	v_mov_b32_e32 v3, v5
	v_add_co_u32_e32 v4, vcc, s2, v0
	v_addc_co_u32_e32 v5, vcc, v6, v1, vcc
	v_lshlrev_b64 v[0:1], 3, v[2:3]
	v_add_co_u32_e64 v65, s[2:3], s12, v63
	v_add_co_u32_e32 v0, vcc, v4, v0
	v_mov_b32_e32 v4, s13
	s_mul_i32 s0, s17, 0x798
	s_mul_hi_u32 s1, s16, 0x798
	v_addc_co_u32_e32 v1, vcc, v5, v1, vcc
	v_addc_co_u32_e64 v14, vcc, 0, v4, s[2:3]
	s_add_i32 s0, s1, s0
	s_mul_i32 s1, s16, 0x798
	global_load_dwordx2 v[2:3], v[0:1], off
	v_mov_b32_e32 v4, s0
	v_add_co_u32_e32 v0, vcc, s1, v0
	v_addc_co_u32_e32 v1, vcc, v1, v4, vcc
	v_mov_b32_e32 v5, s0
	v_add_co_u32_e32 v4, vcc, s1, v0
	v_addc_co_u32_e32 v5, vcc, v1, v5, vcc
	;; [unrolled: 3-line block ×3, first 2 shown]
	global_load_dwordx2 v[49:50], v63, s[12:13]
	global_load_dwordx2 v[47:48], v63, s[12:13] offset:1944
	global_load_dwordx2 v[45:46], v63, s[12:13] offset:3888
	global_load_dwordx2 v[8:9], v[0:1], off
	global_load_dwordx2 v[10:11], v[4:5], off
	;; [unrolled: 1-line block ×3, first 2 shown]
	v_add_co_u32_e32 v0, vcc, s6, v65
	v_addc_co_u32_e32 v1, vcc, 0, v14, vcc
	v_mov_b32_e32 v5, s0
	v_add_co_u32_e32 v4, vcc, s1, v6
	global_load_dwordx2 v[43:44], v[0:1], off offset:1736
	v_addc_co_u32_e32 v5, vcc, v7, v5, vcc
	global_load_dwordx2 v[41:42], v[0:1], off offset:3680
	global_load_dwordx2 v[6:7], v[4:5], off
	v_add_u32_e32 v14, 0xf00, v63
	s_load_dwordx4 s[8:11], s[10:11], 0x0
	s_movk_i32 s0, 0xa2
	v_cmp_gt_u16_e64 s[0:1], s0, v64
	s_waitcnt vmcnt(8)
	v_mul_f32_e32 v0, v3, v50
	v_mul_f32_e32 v1, v2, v50
	v_fmac_f32_e32 v0, v2, v49
	v_fma_f32 v1, v3, v49, -v1
	s_waitcnt vmcnt(5)
	v_mul_f32_e32 v2, v9, v48
	v_mul_f32_e32 v3, v8, v48
	v_fmac_f32_e32 v2, v8, v47
	v_fma_f32 v3, v9, v47, -v3
	s_waitcnt vmcnt(4)
	v_mul_f32_e32 v4, v11, v46
	v_mul_f32_e32 v5, v10, v46
	ds_write2_b64 v63, v[0:1], v[2:3] offset1:243
	s_waitcnt vmcnt(2)
	v_mul_f32_e32 v0, v13, v44
	v_mul_f32_e32 v1, v12, v44
	v_fmac_f32_e32 v4, v10, v45
	s_waitcnt vmcnt(0)
	v_mul_f32_e32 v2, v7, v42
	v_mul_f32_e32 v3, v6, v42
	v_fma_f32 v5, v11, v45, -v5
	v_fmac_f32_e32 v0, v12, v43
	v_fma_f32 v1, v13, v43, -v1
	v_fmac_f32_e32 v2, v6, v41
	v_fma_f32 v3, v7, v41, -v3
	ds_write2_b64 v14, v[4:5], v[0:1] offset0:6 offset1:249
	ds_write_b64 v63, v[2:3] offset:7776
	s_waitcnt lgkmcnt(0)
	s_barrier
	ds_read2_b64 v[0:3], v63 offset1:243
	ds_read2_b64 v[4:7], v14 offset0:6 offset1:249
	ds_read_b64 v[10:11], v63 offset:7776
	s_waitcnt lgkmcnt(0)
	s_barrier
	v_add_f32_e32 v12, v0, v2
	v_add_f32_e32 v8, v4, v6
	;; [unrolled: 1-line block ×4, first 2 shown]
	v_fma_f32 v8, -0.5, v8, v0
	v_fma_f32 v16, -0.5, v9, v0
	v_add_f32_e32 v0, v3, v11
	v_sub_f32_e32 v13, v3, v11
	v_fma_f32 v9, -0.5, v17, v1
	v_fma_f32 v17, -0.5, v0, v1
	v_mov_b32_e32 v0, v8
	v_sub_f32_e32 v14, v2, v4
	v_add_f32_e32 v18, v1, v3
	v_sub_f32_e32 v20, v3, v5
	v_sub_f32_e32 v21, v5, v3
	v_fmac_f32_e32 v0, 0x3f737871, v13
	v_sub_f32_e32 v1, v10, v6
	v_sub_f32_e32 v3, v5, v7
	v_fmac_f32_e32 v8, 0xbf737871, v13
	v_sub_f32_e32 v15, v4, v2
	v_sub_f32_e32 v19, v2, v10
	v_add_f32_e32 v1, v14, v1
	v_fmac_f32_e32 v0, 0x3f167918, v3
	v_fmac_f32_e32 v8, 0xbf167918, v3
	v_mov_b32_e32 v2, v16
	v_fmac_f32_e32 v0, 0x3e9e377a, v1
	v_fmac_f32_e32 v8, 0x3e9e377a, v1
	v_sub_f32_e32 v1, v6, v10
	v_fmac_f32_e32 v2, 0xbf737871, v3
	v_fmac_f32_e32 v16, 0x3f737871, v3
	v_add_f32_e32 v1, v15, v1
	v_fmac_f32_e32 v2, 0x3f167918, v13
	v_fmac_f32_e32 v16, 0xbf167918, v13
	;; [unrolled: 1-line block ×4, first 2 shown]
	v_add_f32_e32 v1, v18, v5
	v_add_f32_e32 v3, v12, v4
	;; [unrolled: 1-line block ×5, first 2 shown]
	v_mov_b32_e32 v1, v9
	v_add_f32_e32 v12, v3, v10
	v_fmac_f32_e32 v1, 0xbf737871, v19
	v_sub_f32_e32 v4, v4, v6
	v_sub_f32_e32 v3, v11, v7
	v_fmac_f32_e32 v9, 0x3f737871, v19
	v_fmac_f32_e32 v1, 0xbf167918, v4
	v_add_f32_e32 v3, v20, v3
	v_fmac_f32_e32 v9, 0x3f167918, v4
	v_fmac_f32_e32 v1, 0x3e9e377a, v3
	;; [unrolled: 1-line block ×3, first 2 shown]
	v_mov_b32_e32 v3, v17
	v_fmac_f32_e32 v3, 0x3f737871, v4
	v_sub_f32_e32 v5, v7, v11
	v_fmac_f32_e32 v17, 0xbf737871, v4
	v_mul_lo_u16_e32 v4, 5, v64
	v_fmac_f32_e32 v3, 0xbf167918, v19
	v_add_f32_e32 v5, v21, v5
	v_fmac_f32_e32 v17, 0x3f167918, v19
	v_lshlrev_b32_e32 v66, 3, v4
	v_fmac_f32_e32 v3, 0x3e9e377a, v5
	v_fmac_f32_e32 v17, 0x3e9e377a, v5
	ds_write2_b64 v66, v[12:13], v[0:1] offset1:1
	ds_write2_b64 v66, v[2:3], v[16:17] offset0:2 offset1:3
	ds_write_b64 v66, v[8:9] offset:32
	s_waitcnt lgkmcnt(0)
	s_barrier
	ds_read_b64 v[10:11], v63
	ds_read_b64 v[14:15], v63 offset:3240
	ds_read_b64 v[12:13], v63 offset:6480
                                        ; implicit-def: $vgpr18
	s_and_saveexec_b64 s[6:7], s[0:1]
	s_cbranch_execz .LBB0_3
; %bb.2:
	ds_read_b64 v[16:17], v63 offset:1944
	ds_read_b64 v[8:9], v63 offset:5184
	;; [unrolled: 1-line block ×3, first 2 shown]
.LBB0_3:
	s_or_b64 exec, exec, s[6:7]
	s_movk_i32 s6, 0xcd
	v_mul_lo_u16_sdwa v0, v64, s6 dst_sel:DWORD dst_unused:UNUSED_PAD src0_sel:BYTE_0 src1_sel:DWORD
	v_add_co_u32_e32 v77, vcc, 0xf3, v64
	v_lshrrev_b16_e32 v20, 10, v0
	s_mov_b32 s6, 0xcccd
	v_mul_lo_u16_e32 v0, 5, v20
	v_mul_u32_u24_sdwa v1, v77, s6 dst_sel:DWORD dst_unused:UNUSED_PAD src0_sel:WORD_0 src1_sel:DWORD
	v_sub_u16_e32 v0, v64, v0
	v_lshrrev_b32_e32 v22, 18, v1
	v_and_b32_e32 v21, 0xff, v0
	v_mul_lo_u16_e32 v1, 5, v22
	v_lshlrev_b32_e32 v0, 4, v21
	v_sub_u16_e32 v23, v77, v1
	global_load_dwordx4 v[4:7], v0, s[14:15]
	v_lshlrev_b16_e32 v0, 1, v23
	v_lshlrev_b32_e32 v0, 3, v0
	global_load_dwordx4 v[0:3], v0, s[14:15]
	v_mul_u32_u24_e32 v20, 15, v20
	v_add_lshl_u32 v67, v20, v21, 3
	v_addc_co_u32_e64 v78, s[6:7], 0, 0, vcc
	v_mad_legacy_u16 v68, v22, 15, v23
	s_waitcnt vmcnt(0) lgkmcnt(0)
	s_barrier
	v_mul_f32_e32 v25, v12, v7
	v_mul_f32_e32 v20, v15, v5
	;; [unrolled: 1-line block ×8, first 2 shown]
	v_fmac_f32_e32 v25, v13, v6
	v_fma_f32 v8, v8, v0, -v26
	v_fmac_f32_e32 v27, v9, v0
	v_fma_f32 v13, v18, v2, -v28
	;; [unrolled: 2-line block ×4, first 2 shown]
	v_add_f32_e32 v26, v8, v13
	v_sub_f32_e32 v28, v27, v29
	v_add_f32_e32 v30, v17, v27
	v_add_f32_e32 v27, v27, v29
	;; [unrolled: 1-line block ×3, first 2 shown]
	v_sub_f32_e32 v18, v21, v25
	v_add_f32_e32 v19, v11, v21
	v_add_f32_e32 v20, v21, v25
	;; [unrolled: 1-line block ×3, first 2 shown]
	v_fmac_f32_e32 v16, -0.5, v26
	v_fmac_f32_e32 v17, -0.5, v27
	v_add_f32_e32 v9, v10, v14
	v_sub_f32_e32 v14, v14, v12
	v_sub_f32_e32 v31, v8, v13
	v_fma_f32 v10, -0.5, v15, v10
	v_fmac_f32_e32 v11, -0.5, v20
	v_add_f32_e32 v24, v21, v13
	v_mov_b32_e32 v20, v16
	v_mov_b32_e32 v21, v17
	v_add_f32_e32 v8, v9, v12
	v_add_f32_e32 v9, v19, v25
	;; [unrolled: 1-line block ×3, first 2 shown]
	v_mov_b32_e32 v12, v10
	v_fmac_f32_e32 v10, 0xbf5db3d7, v18
	v_mov_b32_e32 v13, v11
	v_fmac_f32_e32 v11, 0x3f5db3d7, v14
	v_fmac_f32_e32 v16, 0xbf5db3d7, v28
	;; [unrolled: 1-line block ×7, first 2 shown]
	ds_write_b64 v67, v[10:11] offset:80
	ds_write2_b64 v67, v[8:9], v[12:13] offset1:5
	s_and_saveexec_b64 s[6:7], s[0:1]
	s_cbranch_execz .LBB0_5
; %bb.4:
	v_lshlrev_b32_e32 v8, 3, v68
	ds_write2_b64 v8, v[24:25], v[20:21] offset1:5
	ds_write_b64 v8, v[16:17] offset:80
.LBB0_5:
	s_or_b64 exec, exec, s[6:7]
	s_waitcnt lgkmcnt(0)
	s_barrier
	ds_read_b64 v[18:19], v63
	ds_read_b64 v[26:27], v63 offset:3240
	ds_read_b64 v[22:23], v63 offset:6480
	s_and_saveexec_b64 s[6:7], s[0:1]
	s_cbranch_execz .LBB0_7
; %bb.6:
	ds_read_b64 v[24:25], v63 offset:1944
	ds_read_b64 v[20:21], v63 offset:5184
	;; [unrolled: 1-line block ×3, first 2 shown]
.LBB0_7:
	s_or_b64 exec, exec, s[6:7]
	s_movk_i32 s6, 0x89
	v_mul_lo_u16_sdwa v8, v64, s6 dst_sel:DWORD dst_unused:UNUSED_PAD src0_sel:BYTE_0 src1_sel:DWORD
	s_mov_b32 s6, 0x8889
	v_mul_u32_u24_sdwa v12, v77, s6 dst_sel:DWORD dst_unused:UNUSED_PAD src0_sel:WORD_0 src1_sel:DWORD
	v_lshrrev_b32_e32 v30, 19, v12
	v_lshrrev_b16_e32 v28, 11, v8
	v_mul_lo_u16_e32 v12, 15, v30
	v_mul_lo_u16_e32 v8, 15, v28
	v_sub_u16_e32 v31, v77, v12
	v_sub_u16_e32 v8, v64, v8
	v_lshlrev_b16_e32 v12, 4, v31
	v_and_b32_e32 v29, 0xff, v8
	v_mov_b32_e32 v13, s15
	v_add_co_u32_e32 v12, vcc, s14, v12
	v_lshlrev_b32_e32 v8, 4, v29
	v_addc_co_u32_e32 v13, vcc, 0, v13, vcc
	global_load_dwordx4 v[8:11], v8, s[14:15] offset:80
	v_mul_u32_u24_e32 v28, 45, v28
	global_load_dwordx4 v[12:15], v[12:13], off offset:80
	v_add_lshl_u32 v69, v28, v29, 3
	v_mad_legacy_u16 v72, v30, 45, v31
	s_waitcnt vmcnt(0) lgkmcnt(0)
	s_barrier
	v_mul_f32_e32 v28, v27, v9
	v_mul_f32_e32 v29, v26, v9
	;; [unrolled: 1-line block ×8, first 2 shown]
	v_fma_f32 v20, v20, v12, -v34
	v_fmac_f32_e32 v35, v21, v12
	v_fma_f32 v21, v16, v14, -v36
	v_fmac_f32_e32 v37, v17, v14
	;; [unrolled: 2-line block ×4, first 2 shown]
	v_add_f32_e32 v34, v20, v21
	v_sub_f32_e32 v36, v35, v37
	v_add_f32_e32 v38, v25, v35
	v_add_f32_e32 v35, v35, v37
	;; [unrolled: 1-line block ×3, first 2 shown]
	v_sub_f32_e32 v23, v29, v33
	v_add_f32_e32 v27, v19, v29
	v_add_f32_e32 v28, v29, v33
	;; [unrolled: 1-line block ×3, first 2 shown]
	v_fmac_f32_e32 v24, -0.5, v34
	v_fmac_f32_e32 v25, -0.5, v35
	v_add_f32_e32 v16, v18, v26
	v_sub_f32_e32 v26, v26, v22
	v_sub_f32_e32 v39, v20, v21
	v_fma_f32 v18, -0.5, v17, v18
	v_fmac_f32_e32 v19, -0.5, v28
	v_add_f32_e32 v32, v29, v21
	v_mov_b32_e32 v28, v24
	v_mov_b32_e32 v29, v25
	v_add_f32_e32 v17, v27, v33
	v_add_f32_e32 v33, v38, v37
	v_mov_b32_e32 v20, v18
	v_fmac_f32_e32 v18, 0xbf5db3d7, v23
	v_mov_b32_e32 v21, v19
	v_fmac_f32_e32 v19, 0x3f5db3d7, v26
	v_fmac_f32_e32 v24, 0xbf5db3d7, v36
	;; [unrolled: 1-line block ×5, first 2 shown]
	v_add_f32_e32 v16, v16, v22
	v_fmac_f32_e32 v20, 0x3f5db3d7, v23
	v_fmac_f32_e32 v21, 0xbf5db3d7, v26
	ds_write_b64 v69, v[18:19] offset:240
	ds_write2_b64 v69, v[16:17], v[20:21] offset1:15
	s_and_saveexec_b64 s[6:7], s[0:1]
	s_cbranch_execz .LBB0_9
; %bb.8:
	v_lshlrev_b32_e32 v16, 3, v72
	ds_write2_b64 v16, v[32:33], v[28:29] offset1:15
	ds_write_b64 v16, v[24:25] offset:240
.LBB0_9:
	s_or_b64 exec, exec, s[6:7]
	s_waitcnt lgkmcnt(0)
	s_barrier
	ds_read_b64 v[26:27], v63
	ds_read_b64 v[34:35], v63 offset:3240
	ds_read_b64 v[30:31], v63 offset:6480
	s_and_saveexec_b64 s[6:7], s[0:1]
	s_cbranch_execz .LBB0_11
; %bb.10:
	ds_read_b64 v[32:33], v63 offset:1944
	ds_read_b64 v[28:29], v63 offset:5184
	;; [unrolled: 1-line block ×3, first 2 shown]
.LBB0_11:
	s_or_b64 exec, exec, s[6:7]
	s_movk_i32 s6, 0x6d
	v_mul_lo_u16_sdwa v16, v64, s6 dst_sel:DWORD dst_unused:UNUSED_PAD src0_sel:BYTE_0 src1_sel:DWORD
	v_sub_u16_sdwa v17, v64, v16 dst_sel:DWORD dst_unused:UNUSED_PAD src0_sel:DWORD src1_sel:BYTE_1
	v_lshrrev_b16_e32 v17, 1, v17
	s_movk_i32 s6, 0x2d83
	v_and_b32_e32 v17, 0x7f, v17
	v_mul_u32_u24_sdwa v20, v77, s6 dst_sel:DWORD dst_unused:UNUSED_PAD src0_sel:WORD_0 src1_sel:DWORD
	v_add_u16_sdwa v16, v17, v16 dst_sel:DWORD dst_unused:UNUSED_PAD src0_sel:DWORD src1_sel:BYTE_1
	v_lshrrev_b32_e32 v70, 19, v20
	v_lshrrev_b16_e32 v36, 5, v16
	v_mul_lo_u16_e32 v20, 45, v70
	v_mul_lo_u16_e32 v16, 45, v36
	v_sub_u16_e32 v71, v77, v20
	v_sub_u16_e32 v16, v64, v16
	v_lshlrev_b16_e32 v20, 4, v71
	v_and_b32_e32 v37, 0xff, v16
	v_mov_b32_e32 v21, s15
	v_add_co_u32_e32 v20, vcc, s14, v20
	v_lshlrev_b32_e32 v16, 4, v37
	v_addc_co_u32_e32 v21, vcc, 0, v21, vcc
	global_load_dwordx4 v[16:19], v16, s[14:15] offset:320
	v_mul_u32_u24_e32 v36, 0x87, v36
	global_load_dwordx4 v[20:23], v[20:21], off offset:320
	v_add_lshl_u32 v73, v36, v37, 3
	s_movk_i32 s12, 0x87
	s_waitcnt vmcnt(0) lgkmcnt(0)
	s_barrier
	v_mul_f32_e32 v36, v35, v17
	v_mul_f32_e32 v37, v34, v17
	;; [unrolled: 1-line block ×8, first 2 shown]
	v_fma_f32 v34, v34, v16, -v36
	v_fmac_f32_e32 v37, v35, v16
	v_fma_f32 v30, v30, v18, -v38
	v_fmac_f32_e32 v39, v31, v18
	;; [unrolled: 2-line block ×4, first 2 shown]
	v_add_f32_e32 v25, v34, v30
	v_add_f32_e32 v36, v37, v39
	v_add_f32_e32 v38, v28, v29
	v_add_f32_e32 v56, v52, v54
	v_add_f32_e32 v24, v26, v34
	v_sub_f32_e32 v31, v37, v39
	v_add_f32_e32 v35, v27, v37
	v_add_f32_e32 v37, v32, v28
	;; [unrolled: 1-line block ×3, first 2 shown]
	v_fma_f32 v26, -0.5, v25, v26
	v_fmac_f32_e32 v27, -0.5, v36
	v_fmac_f32_e32 v32, -0.5, v38
	v_fmac_f32_e32 v33, -0.5, v56
	v_sub_f32_e32 v34, v34, v30
	v_sub_f32_e32 v53, v52, v54
	;; [unrolled: 1-line block ×3, first 2 shown]
	v_add_f32_e32 v51, v37, v29
	v_mov_b32_e32 v28, v26
	v_mov_b32_e32 v29, v27
	;; [unrolled: 1-line block ×4, first 2 shown]
	v_add_f32_e32 v24, v24, v30
	v_add_f32_e32 v25, v35, v39
	;; [unrolled: 1-line block ×3, first 2 shown]
	v_fmac_f32_e32 v32, 0xbf5db3d7, v53
	v_fmac_f32_e32 v33, 0x3f5db3d7, v57
	;; [unrolled: 1-line block ×8, first 2 shown]
	ds_write2_b64 v73, v[24:25], v[28:29] offset1:45
	ds_write_b64 v73, v[26:27] offset:720
	s_and_saveexec_b64 s[6:7], s[0:1]
	s_cbranch_execz .LBB0_13
; %bb.12:
	v_mad_legacy_u16 v24, v70, s12, v71
	v_lshlrev_b32_e32 v24, 3, v24
	ds_write2_b64 v24, v[51:52], v[36:37] offset1:45
	ds_write_b64 v24, v[32:33] offset:720
.LBB0_13:
	s_or_b64 exec, exec, s[6:7]
	s_waitcnt lgkmcnt(0)
	s_barrier
	ds_read_b64 v[34:35], v63
	ds_read_b64 v[53:54], v63 offset:3240
	ds_read_b64 v[38:39], v63 offset:6480
	s_and_saveexec_b64 s[6:7], s[0:1]
	s_cbranch_execz .LBB0_15
; %bb.14:
	ds_read_b64 v[51:52], v63 offset:1944
	ds_read_b64 v[36:37], v63 offset:5184
	;; [unrolled: 1-line block ×3, first 2 shown]
.LBB0_15:
	s_or_b64 exec, exec, s[6:7]
	v_add_co_u32_e32 v24, vcc, 0xffffff79, v64
	v_addc_co_u32_e64 v25, s[6:7], 0, -1, vcc
	s_movk_i32 s6, 0x87
	v_cmp_gt_u16_e32 vcc, s6, v64
	s_movk_i32 s6, 0x795d
	v_cndmask_b32_e64 v56, v25, 0, vcc
	v_cndmask_b32_e32 v55, v24, v64, vcc
	v_mul_u32_u24_sdwa v28, v77, s6 dst_sel:DWORD dst_unused:UNUSED_PAD src0_sel:WORD_0 src1_sel:DWORD
	v_lshlrev_b64 v[24:25], 4, v[55:56]
	v_lshrrev_b32_e32 v74, 22, v28
	v_mul_lo_u16_e32 v28, 0x87, v74
	v_mov_b32_e32 v29, s15
	v_add_co_u32_e32 v24, vcc, s14, v24
	v_sub_u16_e32 v75, v77, v28
	v_addc_co_u32_e32 v25, vcc, v29, v25, vcc
	v_lshlrev_b16_e32 v28, 4, v75
	v_add_co_u32_e32 v28, vcc, s14, v28
	global_load_dwordx4 v[24:27], v[24:25], off offset:1040
	v_addc_co_u32_e32 v29, vcc, 0, v29, vcc
	global_load_dwordx4 v[28:31], v[28:29], off offset:1040
	s_movk_i32 s6, 0x86
	v_mov_b32_e32 v56, 0x195
	v_cmp_lt_u16_e32 vcc, s6, v64
	v_cndmask_b32_e32 v56, 0, v56, vcc
	v_add_lshl_u32 v76, v55, v56, 3
	s_movk_i32 s12, 0x195
	s_waitcnt vmcnt(0) lgkmcnt(0)
	s_barrier
	v_mul_f32_e32 v55, v54, v25
	v_mul_f32_e32 v56, v53, v25
	;; [unrolled: 1-line block ×4, first 2 shown]
	v_fma_f32 v53, v53, v24, -v55
	v_fmac_f32_e32 v56, v54, v24
	v_fma_f32 v38, v38, v26, -v57
	v_fmac_f32_e32 v58, v39, v26
	v_mul_f32_e32 v39, v37, v29
	v_mul_f32_e32 v54, v36, v29
	;; [unrolled: 1-line block ×4, first 2 shown]
	v_fma_f32 v36, v36, v28, -v39
	v_fmac_f32_e32 v54, v37, v28
	v_fma_f32 v39, v32, v30, -v55
	v_fmac_f32_e32 v57, v33, v30
	v_add_f32_e32 v33, v53, v38
	v_sub_f32_e32 v55, v56, v58
	v_add_f32_e32 v37, v35, v56
	v_add_f32_e32 v56, v56, v58
	;; [unrolled: 1-line block ×3, first 2 shown]
	v_fma_f32 v34, -0.5, v33, v34
	v_fmac_f32_e32 v35, -0.5, v56
	v_add_f32_e32 v56, v36, v39
	v_add_f32_e32 v61, v54, v57
	v_sub_f32_e32 v59, v53, v38
	v_add_f32_e32 v32, v32, v38
	v_add_f32_e32 v38, v51, v36
	;; [unrolled: 1-line block ×3, first 2 shown]
	v_sub_f32_e32 v62, v36, v39
	v_mov_b32_e32 v36, v34
	v_fmac_f32_e32 v51, -0.5, v56
	v_fmac_f32_e32 v52, -0.5, v61
	v_add_f32_e32 v33, v37, v58
	v_sub_f32_e32 v58, v54, v57
	v_fmac_f32_e32 v34, 0xbf5db3d7, v55
	v_mov_b32_e32 v37, v35
	v_fmac_f32_e32 v36, 0x3f5db3d7, v55
	v_mov_b32_e32 v55, v51
	v_mov_b32_e32 v56, v52
	v_add_f32_e32 v53, v38, v39
	v_add_f32_e32 v54, v60, v57
	v_fmac_f32_e32 v37, 0xbf5db3d7, v59
	v_fmac_f32_e32 v51, 0xbf5db3d7, v58
	;; [unrolled: 1-line block ×6, first 2 shown]
	ds_write2_b64 v76, v[32:33], v[36:37] offset1:135
	ds_write_b64 v76, v[34:35] offset:2160
	s_and_saveexec_b64 s[6:7], s[0:1]
	s_cbranch_execz .LBB0_17
; %bb.16:
	v_mad_legacy_u16 v32, v74, s12, v75
	v_lshlrev_b32_e32 v32, 3, v32
	ds_write2_b64 v32, v[53:54], v[55:56] offset1:135
	ds_write_b64 v32, v[51:52] offset:2160
.LBB0_17:
	s_or_b64 exec, exec, s[6:7]
	s_waitcnt lgkmcnt(0)
	s_barrier
	ds_read_b64 v[57:58], v63
	ds_read_b64 v[61:62], v63 offset:3240
	ds_read_b64 v[59:60], v63 offset:6480
	s_and_saveexec_b64 s[6:7], s[0:1]
	s_cbranch_execz .LBB0_19
; %bb.18:
	ds_read_b64 v[53:54], v63 offset:1944
	ds_read_b64 v[55:56], v63 offset:5184
	;; [unrolled: 1-line block ×3, first 2 shown]
.LBB0_19:
	s_or_b64 exec, exec, s[6:7]
	v_lshlrev_b32_e32 v32, 4, v64
	s_movk_i32 s6, 0xff5e
	global_load_dwordx4 v[36:39], v32, s[14:15] offset:3200
	v_add_co_u32_e32 v32, vcc, s6, v64
	v_addc_co_u32_e64 v33, s[6:7], 0, -1, vcc
	v_cndmask_b32_e64 v33, v33, v78, s[0:1]
	v_cndmask_b32_e64 v32, v32, v77, s[0:1]
	v_lshlrev_b64 v[32:33], 4, v[32:33]
	v_mov_b32_e32 v34, s15
	v_add_co_u32_e32 v32, vcc, s14, v32
	v_addc_co_u32_e32 v33, vcc, v34, v33, vcc
	global_load_dwordx4 v[32:35], v[32:33], off offset:3200
	s_waitcnt vmcnt(1) lgkmcnt(1)
	v_mul_f32_e32 v77, v62, v37
	v_mul_f32_e32 v78, v61, v37
	s_waitcnt lgkmcnt(0)
	v_mul_f32_e32 v79, v60, v39
	v_mul_f32_e32 v80, v59, v39
	v_fma_f32 v61, v61, v36, -v77
	v_fmac_f32_e32 v78, v62, v36
	v_fma_f32 v59, v59, v38, -v79
	v_fmac_f32_e32 v80, v60, v38
	v_add_f32_e32 v60, v57, v61
	v_add_f32_e32 v79, v58, v78
	;; [unrolled: 1-line block ×3, first 2 shown]
	v_sub_f32_e32 v77, v78, v80
	v_add_f32_e32 v78, v78, v80
	v_sub_f32_e32 v81, v61, v59
	v_add_f32_e32 v59, v60, v59
	v_add_f32_e32 v60, v79, v80
	v_fma_f32 v57, -0.5, v62, v57
	v_fmac_f32_e32 v58, -0.5, v78
	ds_write_b64 v63, v[59:60]
	s_waitcnt vmcnt(0)
	v_mul_f32_e32 v78, v56, v33
	v_mul_f32_e32 v59, v55, v33
	;; [unrolled: 1-line block ×4, first 2 shown]
	v_mov_b32_e32 v61, v57
	v_mov_b32_e32 v62, v58
	v_fma_f32 v55, v55, v32, -v78
	v_fmac_f32_e32 v59, v56, v32
	v_fma_f32 v56, v51, v34, -v79
	v_fmac_f32_e32 v60, v52, v34
	v_fmac_f32_e32 v61, 0x3f5db3d7, v77
	;; [unrolled: 1-line block ×3, first 2 shown]
	v_add_f32_e32 v51, v55, v56
	v_add_f32_e32 v52, v59, v60
	ds_write_b64 v63, v[61:62] offset:3240
	v_fma_f32 v61, -0.5, v51, v53
	v_fma_f32 v78, -0.5, v52, v54
	v_fmac_f32_e32 v57, 0xbf5db3d7, v77
	v_sub_f32_e32 v62, v59, v60
	v_sub_f32_e32 v77, v55, v56
	v_mov_b32_e32 v51, v61
	v_mov_b32_e32 v52, v78
	v_fmac_f32_e32 v58, 0x3f5db3d7, v81
	v_fmac_f32_e32 v51, 0xbf5db3d7, v62
	;; [unrolled: 1-line block ×3, first 2 shown]
	ds_write_b64 v63, v[57:58] offset:6480
	s_and_saveexec_b64 s[6:7], s[0:1]
	s_cbranch_execz .LBB0_21
; %bb.20:
	v_add_f32_e32 v54, v54, v59
	v_add_f32_e32 v53, v53, v55
	v_mul_f32_e32 v57, 0x3f5db3d7, v62
	v_mul_f32_e32 v58, 0x3f5db3d7, v77
	v_add_f32_e32 v54, v54, v60
	v_add_f32_e32 v53, v53, v56
	v_sub_f32_e32 v58, v78, v58
	v_add_f32_e32 v57, v57, v61
	ds_write_b64 v63, v[53:54] offset:1944
	ds_write_b64 v63, v[57:58] offset:5184
	;; [unrolled: 1-line block ×3, first 2 shown]
.LBB0_21:
	s_or_b64 exec, exec, s[6:7]
	v_mov_b32_e32 v53, s13
	v_addc_co_u32_e64 v79, vcc, 0, v53, s[2:3]
	v_add_co_u32_e32 v53, vcc, 0x25f8, v65
	s_mov_b64 s[2:3], vcc
	v_add_co_u32_e32 v55, vcc, 0x2000, v65
	v_addc_co_u32_e64 v54, s[2:3], 0, v79, s[2:3]
	v_addc_co_u32_e32 v56, vcc, 0, v79, vcc
	s_waitcnt lgkmcnt(0)
	s_barrier
	global_load_dwordx2 v[57:58], v[53:54], off offset:1944
	global_load_dwordx2 v[59:60], v[55:56], off offset:1528
	s_movk_i32 s2, 0x3000
	v_add_co_u32_e32 v55, vcc, s2, v65
	v_addc_co_u32_e32 v56, vcc, 0, v79, vcc
	s_movk_i32 s2, 0x4000
	global_load_dwordx2 v[61:62], v[55:56], off offset:3264
	global_load_dwordx2 v[77:78], v[53:54], off offset:3888
	v_add_co_u32_e32 v53, vcc, s2, v65
	v_addc_co_u32_e32 v54, vcc, 0, v79, vcc
	global_load_dwordx2 v[79:80], v[53:54], off offset:1112
	ds_read2_b64 v[53:56], v63 offset1:243
	v_add_u32_e32 v65, 0xf00, v63
	s_waitcnt vmcnt(4) lgkmcnt(0)
	v_mul_f32_e32 v81, v56, v58
	v_mul_f32_e32 v82, v55, v58
	s_waitcnt vmcnt(3)
	v_mul_f32_e32 v83, v54, v60
	v_mul_f32_e32 v58, v53, v60
	v_fma_f32 v81, v55, v57, -v81
	v_fmac_f32_e32 v82, v56, v57
	v_fma_f32 v57, v53, v59, -v83
	v_fmac_f32_e32 v58, v54, v59
	ds_write2_b64 v63, v[57:58], v[81:82] offset1:243
	ds_read2_b64 v[53:56], v65 offset0:6 offset1:249
	ds_read_b64 v[57:58], v63 offset:7776
	s_waitcnt vmcnt(1) lgkmcnt(1)
	v_mul_f32_e32 v59, v54, v78
	v_mul_f32_e32 v60, v53, v78
	;; [unrolled: 1-line block ×4, first 2 shown]
	s_waitcnt vmcnt(0) lgkmcnt(0)
	v_mul_f32_e32 v82, v58, v80
	v_mul_f32_e32 v62, v57, v80
	v_fma_f32 v59, v53, v77, -v59
	v_fmac_f32_e32 v60, v54, v77
	v_fma_f32 v77, v55, v61, -v81
	v_fmac_f32_e32 v78, v56, v61
	;; [unrolled: 2-line block ×3, first 2 shown]
	ds_write2_b64 v65, v[59:60], v[77:78] offset0:6 offset1:249
	ds_write_b64 v63, v[61:62] offset:7776
	s_waitcnt lgkmcnt(0)
	s_barrier
	ds_read2_b64 v[56:59], v63 offset1:243
	ds_read2_b64 v[77:80], v65 offset0:6 offset1:249
	ds_read_b64 v[60:61], v63 offset:7776
	s_waitcnt lgkmcnt(0)
	s_barrier
	v_add_f32_e32 v53, v56, v58
	v_add_f32_e32 v54, v77, v79
	v_sub_f32_e32 v81, v58, v77
	v_sub_f32_e32 v82, v60, v79
	v_fma_f32 v55, -0.5, v54, v56
	v_sub_f32_e32 v62, v59, v61
	v_add_f32_e32 v83, v58, v60
	v_add_f32_e32 v86, v57, v59
	v_add_f32_e32 v87, v78, v80
	v_add_f32_e32 v54, v81, v82
	v_mov_b32_e32 v81, v55
	v_sub_f32_e32 v65, v78, v80
	v_sub_f32_e32 v84, v77, v58
	;; [unrolled: 1-line block ×3, first 2 shown]
	v_add_f32_e32 v77, v53, v77
	v_fma_f32 v53, -0.5, v83, v56
	v_add_f32_e32 v82, v86, v78
	v_fma_f32 v56, -0.5, v87, v57
	v_fmac_f32_e32 v55, 0x3f737871, v62
	v_fmac_f32_e32 v81, 0xbf737871, v62
	v_sub_f32_e32 v85, v79, v60
	v_sub_f32_e32 v58, v58, v60
	v_add_f32_e32 v77, v77, v79
	v_add_f32_e32 v79, v82, v80
	v_mov_b32_e32 v82, v56
	v_fmac_f32_e32 v55, 0x3f167918, v65
	v_fmac_f32_e32 v81, 0xbf167918, v65
	v_add_f32_e32 v84, v84, v85
	v_add_f32_e32 v85, v77, v60
	v_fmac_f32_e32 v82, 0x3f737871, v58
	v_fmac_f32_e32 v55, 0x3e9e377a, v54
	;; [unrolled: 1-line block ×3, first 2 shown]
	v_sub_f32_e32 v54, v59, v78
	v_sub_f32_e32 v60, v61, v80
	v_fmac_f32_e32 v56, 0xbf737871, v58
	v_mov_b32_e32 v83, v53
	v_fmac_f32_e32 v82, 0x3f167918, v88
	v_add_f32_e32 v54, v54, v60
	v_fmac_f32_e32 v56, 0xbf167918, v88
	v_fmac_f32_e32 v53, 0xbf737871, v65
	;; [unrolled: 1-line block ×5, first 2 shown]
	v_add_f32_e32 v54, v59, v61
	v_fmac_f32_e32 v53, 0x3f167918, v62
	v_fmac_f32_e32 v83, 0xbf167918, v62
	v_fma_f32 v54, -0.5, v54, v57
	v_fmac_f32_e32 v53, 0x3e9e377a, v84
	v_fmac_f32_e32 v83, 0x3e9e377a, v84
	v_mov_b32_e32 v84, v54
	v_fmac_f32_e32 v84, 0xbf737871, v88
	v_sub_f32_e32 v57, v78, v59
	v_sub_f32_e32 v59, v80, v61
	v_fmac_f32_e32 v54, 0x3f737871, v88
	v_add_f32_e32 v86, v79, v61
	v_fmac_f32_e32 v84, 0x3f167918, v58
	v_add_f32_e32 v57, v57, v59
	v_fmac_f32_e32 v54, 0xbf167918, v58
	v_fmac_f32_e32 v84, 0x3e9e377a, v57
	;; [unrolled: 1-line block ×3, first 2 shown]
	ds_write2_b64 v66, v[85:86], v[81:82] offset1:1
	ds_write2_b64 v66, v[83:84], v[53:54] offset0:2 offset1:3
	ds_write_b64 v66, v[55:56] offset:32
	s_waitcnt lgkmcnt(0)
	s_barrier
	ds_read_b64 v[57:58], v63
	ds_read_b64 v[61:62], v63 offset:3240
	ds_read_b64 v[59:60], v63 offset:6480
	s_and_saveexec_b64 s[2:3], s[0:1]
	s_cbranch_execz .LBB0_23
; %bb.22:
	ds_read_b64 v[53:54], v63 offset:1944
	ds_read_b64 v[55:56], v63 offset:5184
	;; [unrolled: 1-line block ×3, first 2 shown]
.LBB0_23:
	s_or_b64 exec, exec, s[2:3]
	s_waitcnt lgkmcnt(1)
	v_mul_f32_e32 v65, v5, v62
	v_mul_f32_e32 v5, v5, v61
	v_fmac_f32_e32 v65, v4, v61
	v_fma_f32 v61, v4, v62, -v5
	s_waitcnt lgkmcnt(0)
	v_mul_f32_e32 v62, v7, v60
	v_fmac_f32_e32 v62, v6, v59
	v_mul_f32_e32 v4, v7, v59
	v_mul_f32_e32 v59, v1, v56
	;; [unrolled: 1-line block ×3, first 2 shown]
	v_fmac_f32_e32 v59, v0, v55
	v_fma_f32 v55, v0, v56, -v1
	v_mul_f32_e32 v0, v3, v51
	v_mul_f32_e32 v56, v3, v52
	v_fma_f32 v3, v2, v52, -v0
	v_add_f32_e32 v0, v57, v65
	v_fma_f32 v7, v6, v60, -v4
	v_add_f32_e32 v4, v0, v62
	v_add_f32_e32 v0, v65, v62
	v_fma_f32 v57, -0.5, v0, v57
	v_sub_f32_e32 v0, v61, v7
	v_mov_b32_e32 v6, v57
	v_fmac_f32_e32 v6, 0xbf5db3d7, v0
	v_fmac_f32_e32 v57, 0x3f5db3d7, v0
	v_add_f32_e32 v0, v58, v61
	v_add_f32_e32 v5, v0, v7
	;; [unrolled: 1-line block ×3, first 2 shown]
	v_fmac_f32_e32 v56, v2, v51
	v_fmac_f32_e32 v58, -0.5, v0
	v_sub_f32_e32 v0, v65, v62
	v_mov_b32_e32 v7, v58
	v_add_f32_e32 v1, v59, v56
	v_fmac_f32_e32 v7, 0x3f5db3d7, v0
	v_fmac_f32_e32 v58, 0xbf5db3d7, v0
	v_add_f32_e32 v0, v53, v59
	v_fmac_f32_e32 v53, -0.5, v1
	v_sub_f32_e32 v1, v55, v3
	v_mov_b32_e32 v2, v53
	v_fmac_f32_e32 v2, 0xbf5db3d7, v1
	v_fmac_f32_e32 v53, 0x3f5db3d7, v1
	v_add_f32_e32 v1, v54, v55
	v_add_f32_e32 v1, v1, v3
	;; [unrolled: 1-line block ×3, first 2 shown]
	v_fmac_f32_e32 v54, -0.5, v3
	v_sub_f32_e32 v51, v59, v56
	v_mov_b32_e32 v3, v54
	v_add_f32_e32 v0, v0, v56
	v_fmac_f32_e32 v3, 0x3f5db3d7, v51
	v_fmac_f32_e32 v54, 0xbf5db3d7, v51
	s_barrier
	ds_write2_b64 v67, v[4:5], v[6:7] offset1:5
	ds_write_b64 v67, v[57:58] offset:80
	s_and_saveexec_b64 s[2:3], s[0:1]
	s_cbranch_execz .LBB0_25
; %bb.24:
	v_lshlrev_b32_e32 v4, 3, v68
	ds_write2_b64 v4, v[0:1], v[2:3] offset1:5
	ds_write_b64 v4, v[53:54] offset:80
.LBB0_25:
	s_or_b64 exec, exec, s[2:3]
	s_waitcnt lgkmcnt(0)
	s_barrier
	ds_read_b64 v[4:5], v63
	ds_read_b64 v[51:52], v63 offset:3240
	ds_read_b64 v[6:7], v63 offset:6480
	s_and_saveexec_b64 s[2:3], s[0:1]
	s_cbranch_execz .LBB0_27
; %bb.26:
	ds_read_b64 v[0:1], v63 offset:1944
	ds_read_b64 v[2:3], v63 offset:5184
	;; [unrolled: 1-line block ×3, first 2 shown]
.LBB0_27:
	s_or_b64 exec, exec, s[2:3]
	s_waitcnt lgkmcnt(1)
	v_mul_f32_e32 v55, v9, v52
	v_mul_f32_e32 v9, v9, v51
	v_fmac_f32_e32 v55, v8, v51
	v_fma_f32 v51, v8, v52, -v9
	s_waitcnt lgkmcnt(0)
	v_mul_f32_e32 v52, v11, v7
	v_fmac_f32_e32 v52, v10, v6
	v_mul_f32_e32 v6, v11, v6
	v_fma_f32 v6, v10, v7, -v6
	v_mul_f32_e32 v7, v13, v3
	v_fmac_f32_e32 v7, v12, v2
	v_mul_f32_e32 v2, v13, v2
	v_fma_f32 v12, v12, v3, -v2
	v_mul_f32_e32 v13, v15, v54
	v_mul_f32_e32 v2, v15, v53
	v_fmac_f32_e32 v13, v14, v53
	v_fma_f32 v14, v14, v54, -v2
	v_add_f32_e32 v2, v4, v55
	v_add_f32_e32 v8, v2, v52
	;; [unrolled: 1-line block ×3, first 2 shown]
	v_fma_f32 v4, -0.5, v2, v4
	v_sub_f32_e32 v2, v51, v6
	v_mov_b32_e32 v10, v4
	v_fmac_f32_e32 v10, 0xbf5db3d7, v2
	v_fmac_f32_e32 v4, 0x3f5db3d7, v2
	v_add_f32_e32 v2, v5, v51
	v_add_f32_e32 v9, v2, v6
	v_add_f32_e32 v2, v51, v6
	v_fmac_f32_e32 v5, -0.5, v2
	v_sub_f32_e32 v2, v55, v52
	v_mov_b32_e32 v11, v5
	v_add_f32_e32 v3, v7, v13
	v_fmac_f32_e32 v11, 0x3f5db3d7, v2
	v_fmac_f32_e32 v5, 0xbf5db3d7, v2
	v_add_f32_e32 v2, v0, v7
	v_fmac_f32_e32 v0, -0.5, v3
	v_sub_f32_e32 v3, v12, v14
	v_mov_b32_e32 v6, v0
	v_fmac_f32_e32 v6, 0xbf5db3d7, v3
	v_fmac_f32_e32 v0, 0x3f5db3d7, v3
	v_add_f32_e32 v3, v1, v12
	v_add_f32_e32 v12, v12, v14
	v_fmac_f32_e32 v1, -0.5, v12
	v_sub_f32_e32 v12, v7, v13
	v_mov_b32_e32 v7, v1
	v_add_f32_e32 v2, v2, v13
	v_add_f32_e32 v3, v3, v14
	v_fmac_f32_e32 v7, 0x3f5db3d7, v12
	v_fmac_f32_e32 v1, 0xbf5db3d7, v12
	s_barrier
	ds_write2_b64 v69, v[8:9], v[10:11] offset1:15
	ds_write_b64 v69, v[4:5] offset:240
	s_and_saveexec_b64 s[2:3], s[0:1]
	s_cbranch_execz .LBB0_29
; %bb.28:
	v_lshlrev_b32_e32 v4, 3, v72
	ds_write2_b64 v4, v[2:3], v[6:7] offset1:15
	ds_write_b64 v4, v[0:1] offset:240
.LBB0_29:
	s_or_b64 exec, exec, s[2:3]
	s_waitcnt lgkmcnt(0)
	s_barrier
	ds_read_b64 v[4:5], v63
	ds_read_b64 v[10:11], v63 offset:3240
	ds_read_b64 v[8:9], v63 offset:6480
	s_and_saveexec_b64 s[2:3], s[0:1]
	s_cbranch_execz .LBB0_31
; %bb.30:
	ds_read_b64 v[2:3], v63 offset:1944
	ds_read_b64 v[6:7], v63 offset:5184
	;; [unrolled: 1-line block ×3, first 2 shown]
.LBB0_31:
	s_or_b64 exec, exec, s[2:3]
	s_waitcnt lgkmcnt(0)
	v_mul_f32_e32 v13, v19, v9
	v_mul_f32_e32 v12, v17, v11
	v_fmac_f32_e32 v13, v18, v8
	v_mul_f32_e32 v8, v19, v8
	v_mul_f32_e32 v15, v23, v1
	v_fmac_f32_e32 v12, v16, v10
	v_mul_f32_e32 v10, v17, v10
	v_fma_f32 v8, v18, v9, -v8
	v_mul_f32_e32 v9, v21, v7
	v_fmac_f32_e32 v15, v22, v0
	v_mul_f32_e32 v0, v23, v0
	v_fma_f32 v11, v16, v11, -v10
	v_fmac_f32_e32 v9, v20, v6
	v_mul_f32_e32 v6, v21, v6
	v_fma_f32 v16, v22, v1, -v0
	v_add_f32_e32 v0, v4, v12
	v_fma_f32 v14, v20, v7, -v6
	v_add_f32_e32 v6, v0, v13
	v_add_f32_e32 v0, v12, v13
	v_fma_f32 v4, -0.5, v0, v4
	v_sub_f32_e32 v0, v11, v8
	v_mov_b32_e32 v10, v4
	v_fmac_f32_e32 v10, 0xbf5db3d7, v0
	v_fmac_f32_e32 v4, 0x3f5db3d7, v0
	v_add_f32_e32 v0, v5, v11
	v_add_f32_e32 v7, v0, v8
	v_add_f32_e32 v0, v11, v8
	v_fmac_f32_e32 v5, -0.5, v0
	v_sub_f32_e32 v0, v12, v13
	v_mov_b32_e32 v11, v5
	v_add_f32_e32 v1, v9, v15
	v_fmac_f32_e32 v11, 0x3f5db3d7, v0
	v_fmac_f32_e32 v5, 0xbf5db3d7, v0
	v_add_f32_e32 v0, v2, v9
	v_fmac_f32_e32 v2, -0.5, v1
	v_sub_f32_e32 v1, v14, v16
	v_mov_b32_e32 v8, v2
	v_add_f32_e32 v12, v14, v16
	v_fmac_f32_e32 v8, 0xbf5db3d7, v1
	v_fmac_f32_e32 v2, 0x3f5db3d7, v1
	v_add_f32_e32 v1, v3, v14
	v_fmac_f32_e32 v3, -0.5, v12
	v_sub_f32_e32 v12, v9, v15
	v_mov_b32_e32 v9, v3
	v_add_f32_e32 v0, v0, v15
	v_add_f32_e32 v1, v1, v16
	v_fmac_f32_e32 v9, 0x3f5db3d7, v12
	v_fmac_f32_e32 v3, 0xbf5db3d7, v12
	s_barrier
	ds_write2_b64 v73, v[6:7], v[10:11] offset1:45
	ds_write_b64 v73, v[4:5] offset:720
	s_and_saveexec_b64 s[2:3], s[0:1]
	s_cbranch_execz .LBB0_33
; %bb.32:
	s_movk_i32 s6, 0x87
	v_mad_legacy_u16 v4, v70, s6, v71
	v_lshlrev_b32_e32 v4, 3, v4
	ds_write2_b64 v4, v[0:1], v[8:9] offset1:45
	ds_write_b64 v4, v[2:3] offset:720
.LBB0_33:
	s_or_b64 exec, exec, s[2:3]
	s_waitcnt lgkmcnt(0)
	s_barrier
	ds_read_b64 v[6:7], v63
	ds_read_b64 v[10:11], v63 offset:3240
	ds_read_b64 v[4:5], v63 offset:6480
	s_and_saveexec_b64 s[2:3], s[0:1]
	s_cbranch_execz .LBB0_35
; %bb.34:
	ds_read_b64 v[0:1], v63 offset:1944
	ds_read_b64 v[8:9], v63 offset:5184
	;; [unrolled: 1-line block ×3, first 2 shown]
.LBB0_35:
	s_or_b64 exec, exec, s[2:3]
	s_waitcnt lgkmcnt(0)
	v_mul_f32_e32 v13, v27, v5
	v_mul_f32_e32 v12, v25, v11
	v_fmac_f32_e32 v13, v26, v4
	v_mul_f32_e32 v4, v27, v4
	v_mul_f32_e32 v15, v31, v3
	v_fmac_f32_e32 v12, v24, v10
	v_fma_f32 v4, v26, v5, -v4
	v_mul_f32_e32 v5, v29, v9
	v_fmac_f32_e32 v15, v30, v2
	v_mul_f32_e32 v2, v31, v2
	v_fmac_f32_e32 v5, v28, v8
	v_mul_f32_e32 v8, v29, v8
	v_fma_f32 v16, v30, v3, -v2
	v_add_f32_e32 v2, v6, v12
	v_mul_f32_e32 v10, v25, v10
	v_fma_f32 v14, v28, v9, -v8
	v_add_f32_e32 v8, v2, v13
	v_add_f32_e32 v2, v12, v13
	v_fma_f32 v11, v24, v11, -v10
	v_fma_f32 v6, -0.5, v2, v6
	v_sub_f32_e32 v2, v11, v4
	v_mov_b32_e32 v10, v6
	v_fmac_f32_e32 v10, 0xbf5db3d7, v2
	v_fmac_f32_e32 v6, 0x3f5db3d7, v2
	v_add_f32_e32 v2, v7, v11
	v_add_f32_e32 v9, v2, v4
	;; [unrolled: 1-line block ×3, first 2 shown]
	v_fmac_f32_e32 v7, -0.5, v2
	v_sub_f32_e32 v2, v12, v13
	v_mov_b32_e32 v11, v7
	v_add_f32_e32 v3, v5, v15
	v_fmac_f32_e32 v11, 0x3f5db3d7, v2
	v_fmac_f32_e32 v7, 0xbf5db3d7, v2
	v_add_f32_e32 v2, v0, v5
	v_fmac_f32_e32 v0, -0.5, v3
	v_sub_f32_e32 v3, v14, v16
	v_mov_b32_e32 v4, v0
	v_add_f32_e32 v12, v14, v16
	v_fmac_f32_e32 v4, 0xbf5db3d7, v3
	v_fmac_f32_e32 v0, 0x3f5db3d7, v3
	v_add_f32_e32 v3, v1, v14
	v_fmac_f32_e32 v1, -0.5, v12
	v_sub_f32_e32 v12, v5, v15
	v_mov_b32_e32 v5, v1
	v_add_f32_e32 v2, v2, v15
	v_add_f32_e32 v3, v3, v16
	v_fmac_f32_e32 v5, 0x3f5db3d7, v12
	v_fmac_f32_e32 v1, 0xbf5db3d7, v12
	s_barrier
	ds_write2_b64 v76, v[8:9], v[10:11] offset1:135
	ds_write_b64 v76, v[6:7] offset:2160
	s_and_saveexec_b64 s[2:3], s[0:1]
	s_cbranch_execz .LBB0_37
; %bb.36:
	s_movk_i32 s6, 0x195
	v_mad_legacy_u16 v6, v74, s6, v75
	v_lshlrev_b32_e32 v6, 3, v6
	ds_write2_b64 v6, v[2:3], v[4:5] offset1:135
	ds_write_b64 v6, v[0:1] offset:2160
.LBB0_37:
	s_or_b64 exec, exec, s[2:3]
	s_waitcnt lgkmcnt(0)
	s_barrier
	ds_read_b64 v[6:7], v63
	ds_read_b64 v[10:11], v63 offset:3240
	ds_read_b64 v[8:9], v63 offset:6480
	s_and_saveexec_b64 s[2:3], s[0:1]
	s_cbranch_execz .LBB0_39
; %bb.38:
	ds_read_b64 v[2:3], v63 offset:1944
	ds_read_b64 v[4:5], v63 offset:5184
	;; [unrolled: 1-line block ×3, first 2 shown]
.LBB0_39:
	s_or_b64 exec, exec, s[2:3]
	s_waitcnt lgkmcnt(1)
	v_mul_f32_e32 v12, v37, v11
	s_waitcnt lgkmcnt(0)
	v_mul_f32_e32 v13, v39, v9
	v_fmac_f32_e32 v12, v36, v10
	v_fmac_f32_e32 v13, v38, v8
	v_mul_f32_e32 v8, v39, v8
	v_mul_f32_e32 v10, v37, v10
	v_fma_f32 v14, v38, v9, -v8
	v_add_f32_e32 v9, v12, v13
	v_fma_f32 v11, v36, v11, -v10
	v_add_f32_e32 v8, v6, v12
	v_fma_f32 v6, -0.5, v9, v6
	v_sub_f32_e32 v9, v11, v14
	v_mov_b32_e32 v10, v6
	v_fmac_f32_e32 v10, 0xbf5db3d7, v9
	v_fmac_f32_e32 v6, 0x3f5db3d7, v9
	v_add_f32_e32 v9, v7, v11
	v_add_f32_e32 v11, v11, v14
	v_fmac_f32_e32 v7, -0.5, v11
	v_add_f32_e32 v8, v8, v13
	v_add_f32_e32 v9, v9, v14
	v_sub_f32_e32 v12, v12, v13
	v_mov_b32_e32 v11, v7
	v_fmac_f32_e32 v11, 0x3f5db3d7, v12
	v_fmac_f32_e32 v7, 0xbf5db3d7, v12
	ds_write_b64 v63, v[8:9]
	ds_write_b64 v63, v[10:11] offset:3240
	ds_write_b64 v63, v[6:7] offset:6480
	s_and_saveexec_b64 s[2:3], s[0:1]
	s_cbranch_execz .LBB0_41
; %bb.40:
	v_mul_f32_e32 v6, v33, v4
	v_fma_f32 v7, v32, v5, -v6
	v_mul_f32_e32 v6, v35, v0
	v_fma_f32 v8, v34, v1, -v6
	v_mul_f32_e32 v9, v33, v5
	v_add_f32_e32 v6, v7, v8
	v_fmac_f32_e32 v9, v32, v4
	v_mul_f32_e32 v4, v35, v1
	v_fma_f32 v6, -0.5, v6, v3
	v_fmac_f32_e32 v4, v34, v0
	v_sub_f32_e32 v0, v9, v4
	v_mov_b32_e32 v1, v6
	v_fmac_f32_e32 v1, 0xbf5db3d7, v0
	v_fmac_f32_e32 v6, 0x3f5db3d7, v0
	v_add_f32_e32 v0, v3, v7
	v_add_f32_e32 v3, v0, v8
	;; [unrolled: 1-line block ×3, first 2 shown]
	v_fma_f32 v5, -0.5, v0, v2
	v_add_f32_e32 v2, v2, v9
	v_sub_f32_e32 v7, v7, v8
	v_mov_b32_e32 v0, v5
	v_add_f32_e32 v2, v2, v4
	v_fmac_f32_e32 v0, 0x3f5db3d7, v7
	v_fmac_f32_e32 v5, 0xbf5db3d7, v7
	ds_write_b64 v63, v[2:3] offset:1944
	ds_write_b64 v63, v[5:6] offset:5184
	;; [unrolled: 1-line block ×3, first 2 shown]
.LBB0_41:
	s_or_b64 exec, exec, s[2:3]
	s_waitcnt lgkmcnt(0)
	s_barrier
	ds_read2_b64 v[0:3], v63 offset1:243
	v_mad_u64_u32 v[4:5], s[0:1], s10, v40, 0
	s_mov_b32 s0, 0x40e53dbc
	s_mov_b32 s1, 0x3f4af834
	s_waitcnt lgkmcnt(0)
	v_mul_f32_e32 v6, v50, v1
	v_fmac_f32_e32 v6, v49, v0
	v_cvt_f64_f32_e32 v[6:7], v6
	v_mul_f32_e32 v0, v50, v0
	v_fma_f32 v0, v49, v1, -v0
	v_cvt_f64_f32_e32 v[0:1], v0
	v_mul_f64 v[6:7], v[6:7], s[0:1]
	v_mad_u64_u32 v[8:9], s[2:3], s8, v64, 0
	v_mul_f64 v[0:1], v[0:1], s[0:1]
	v_mad_u64_u32 v[10:11], s[2:3], s11, v40, v[5:6]
	v_mov_b32_e32 v5, v9
	v_mad_u64_u32 v[11:12], s[2:3], s9, v64, v[5:6]
	v_mov_b32_e32 v5, v10
	v_cvt_f32_f64_e32 v6, v[6:7]
	v_cvt_f32_f64_e32 v7, v[0:1]
	v_lshlrev_b64 v[0:1], 3, v[4:5]
	v_mul_f32_e32 v4, v48, v3
	v_fmac_f32_e32 v4, v47, v2
	v_mul_f32_e32 v2, v48, v2
	v_fma_f32 v2, v47, v3, -v2
	v_mov_b32_e32 v9, v11
	v_mov_b32_e32 v10, s5
	v_cvt_f64_f32_e32 v[2:3], v2
	v_add_co_u32_e32 v11, vcc, s4, v0
	v_addc_co_u32_e32 v12, vcc, v10, v1, vcc
	v_lshlrev_b64 v[0:1], 3, v[8:9]
	v_mul_f64 v[8:9], v[2:3], s[0:1]
	v_add_co_u32_e32 v10, vcc, v11, v0
	v_add_u32_e32 v0, 0xf00, v63
	v_addc_co_u32_e32 v11, vcc, v12, v1, vcc
	ds_read2_b64 v[0:3], v0 offset0:6 offset1:249
	v_cvt_f64_f32_e32 v[4:5], v4
	global_store_dwordx2 v[10:11], v[6:7], off
	s_mul_i32 s2, s9, 0x798
	s_mul_hi_u32 s3, s8, 0x798
	s_waitcnt lgkmcnt(0)
	v_mul_f32_e32 v6, v46, v1
	v_fmac_f32_e32 v6, v45, v0
	v_mul_f32_e32 v0, v46, v0
	v_fma_f32 v0, v45, v1, -v0
	v_mul_f64 v[4:5], v[4:5], s[0:1]
	v_cvt_f64_f32_e32 v[0:1], v0
	v_cvt_f64_f32_e32 v[6:7], v6
	s_add_i32 s2, s3, s2
	s_mul_i32 s3, s8, 0x798
	v_mul_f64 v[0:1], v[0:1], s[0:1]
	v_mul_f64 v[6:7], v[6:7], s[0:1]
	v_cvt_f32_f64_e32 v4, v[4:5]
	v_cvt_f32_f64_e32 v5, v[8:9]
	v_mov_b32_e32 v9, s2
	v_add_co_u32_e32 v8, vcc, s3, v10
	v_addc_co_u32_e32 v9, vcc, v11, v9, vcc
	global_store_dwordx2 v[8:9], v[4:5], off
	v_cvt_f32_f64_e32 v5, v[0:1]
	v_mul_f32_e32 v0, v44, v3
	v_fmac_f32_e32 v0, v43, v2
	v_mul_f32_e32 v2, v44, v2
	v_fma_f32 v2, v43, v3, -v2
	v_cvt_f32_f64_e32 v4, v[6:7]
	v_cvt_f64_f32_e32 v[0:1], v0
	v_cvt_f64_f32_e32 v[2:3], v2
	ds_read_b64 v[6:7], v63 offset:7776
	v_mov_b32_e32 v10, s2
	v_add_co_u32_e32 v8, vcc, s3, v8
	v_addc_co_u32_e32 v9, vcc, v9, v10, vcc
	v_mul_f64 v[0:1], v[0:1], s[0:1]
	v_mul_f64 v[2:3], v[2:3], s[0:1]
	global_store_dwordx2 v[8:9], v[4:5], off
	s_waitcnt lgkmcnt(0)
	v_mul_f32_e32 v4, v42, v7
	v_fmac_f32_e32 v4, v41, v6
	v_mul_f32_e32 v6, v42, v6
	v_fma_f32 v6, v41, v7, -v6
	v_cvt_f64_f32_e32 v[4:5], v4
	v_cvt_f64_f32_e32 v[6:7], v6
	v_cvt_f32_f64_e32 v0, v[0:1]
	v_cvt_f32_f64_e32 v1, v[2:3]
	v_mul_f64 v[2:3], v[4:5], s[0:1]
	v_mul_f64 v[4:5], v[6:7], s[0:1]
	v_mov_b32_e32 v7, s2
	v_add_co_u32_e32 v6, vcc, s3, v8
	v_addc_co_u32_e32 v7, vcc, v9, v7, vcc
	global_store_dwordx2 v[6:7], v[0:1], off
	v_cvt_f32_f64_e32 v0, v[2:3]
	v_cvt_f32_f64_e32 v1, v[4:5]
	v_mov_b32_e32 v3, s2
	v_add_co_u32_e32 v2, vcc, s3, v6
	v_addc_co_u32_e32 v3, vcc, v7, v3, vcc
	global_store_dwordx2 v[2:3], v[0:1], off
.LBB0_42:
	s_endpgm
	.section	.rodata,"a",@progbits
	.p2align	6, 0x0
	.amdhsa_kernel bluestein_single_fwd_len1215_dim1_sp_op_CI_CI
		.amdhsa_group_segment_fixed_size 9720
		.amdhsa_private_segment_fixed_size 0
		.amdhsa_kernarg_size 104
		.amdhsa_user_sgpr_count 6
		.amdhsa_user_sgpr_private_segment_buffer 1
		.amdhsa_user_sgpr_dispatch_ptr 0
		.amdhsa_user_sgpr_queue_ptr 0
		.amdhsa_user_sgpr_kernarg_segment_ptr 1
		.amdhsa_user_sgpr_dispatch_id 0
		.amdhsa_user_sgpr_flat_scratch_init 0
		.amdhsa_user_sgpr_private_segment_size 0
		.amdhsa_uses_dynamic_stack 0
		.amdhsa_system_sgpr_private_segment_wavefront_offset 0
		.amdhsa_system_sgpr_workgroup_id_x 1
		.amdhsa_system_sgpr_workgroup_id_y 0
		.amdhsa_system_sgpr_workgroup_id_z 0
		.amdhsa_system_sgpr_workgroup_info 0
		.amdhsa_system_vgpr_workitem_id 0
		.amdhsa_next_free_vgpr 89
		.amdhsa_next_free_sgpr 20
		.amdhsa_reserve_vcc 1
		.amdhsa_reserve_flat_scratch 0
		.amdhsa_float_round_mode_32 0
		.amdhsa_float_round_mode_16_64 0
		.amdhsa_float_denorm_mode_32 3
		.amdhsa_float_denorm_mode_16_64 3
		.amdhsa_dx10_clamp 1
		.amdhsa_ieee_mode 1
		.amdhsa_fp16_overflow 0
		.amdhsa_exception_fp_ieee_invalid_op 0
		.amdhsa_exception_fp_denorm_src 0
		.amdhsa_exception_fp_ieee_div_zero 0
		.amdhsa_exception_fp_ieee_overflow 0
		.amdhsa_exception_fp_ieee_underflow 0
		.amdhsa_exception_fp_ieee_inexact 0
		.amdhsa_exception_int_div_zero 0
	.end_amdhsa_kernel
	.text
.Lfunc_end0:
	.size	bluestein_single_fwd_len1215_dim1_sp_op_CI_CI, .Lfunc_end0-bluestein_single_fwd_len1215_dim1_sp_op_CI_CI
                                        ; -- End function
	.section	.AMDGPU.csdata,"",@progbits
; Kernel info:
; codeLenInByte = 6572
; NumSgprs: 24
; NumVgprs: 89
; ScratchSize: 0
; MemoryBound: 0
; FloatMode: 240
; IeeeMode: 1
; LDSByteSize: 9720 bytes/workgroup (compile time only)
; SGPRBlocks: 2
; VGPRBlocks: 22
; NumSGPRsForWavesPerEU: 24
; NumVGPRsForWavesPerEU: 89
; Occupancy: 2
; WaveLimiterHint : 1
; COMPUTE_PGM_RSRC2:SCRATCH_EN: 0
; COMPUTE_PGM_RSRC2:USER_SGPR: 6
; COMPUTE_PGM_RSRC2:TRAP_HANDLER: 0
; COMPUTE_PGM_RSRC2:TGID_X_EN: 1
; COMPUTE_PGM_RSRC2:TGID_Y_EN: 0
; COMPUTE_PGM_RSRC2:TGID_Z_EN: 0
; COMPUTE_PGM_RSRC2:TIDIG_COMP_CNT: 0
	.type	__hip_cuid_b3c40f696338268d,@object ; @__hip_cuid_b3c40f696338268d
	.section	.bss,"aw",@nobits
	.globl	__hip_cuid_b3c40f696338268d
__hip_cuid_b3c40f696338268d:
	.byte	0                               ; 0x0
	.size	__hip_cuid_b3c40f696338268d, 1

	.ident	"AMD clang version 19.0.0git (https://github.com/RadeonOpenCompute/llvm-project roc-6.4.0 25133 c7fe45cf4b819c5991fe208aaa96edf142730f1d)"
	.section	".note.GNU-stack","",@progbits
	.addrsig
	.addrsig_sym __hip_cuid_b3c40f696338268d
	.amdgpu_metadata
---
amdhsa.kernels:
  - .args:
      - .actual_access:  read_only
        .address_space:  global
        .offset:         0
        .size:           8
        .value_kind:     global_buffer
      - .actual_access:  read_only
        .address_space:  global
        .offset:         8
        .size:           8
        .value_kind:     global_buffer
      - .actual_access:  read_only
        .address_space:  global
        .offset:         16
        .size:           8
        .value_kind:     global_buffer
      - .actual_access:  read_only
        .address_space:  global
        .offset:         24
        .size:           8
        .value_kind:     global_buffer
      - .actual_access:  read_only
        .address_space:  global
        .offset:         32
        .size:           8
        .value_kind:     global_buffer
      - .offset:         40
        .size:           8
        .value_kind:     by_value
      - .address_space:  global
        .offset:         48
        .size:           8
        .value_kind:     global_buffer
      - .address_space:  global
        .offset:         56
        .size:           8
        .value_kind:     global_buffer
      - .address_space:  global
        .offset:         64
        .size:           8
        .value_kind:     global_buffer
      - .address_space:  global
        .offset:         72
        .size:           8
        .value_kind:     global_buffer
      - .offset:         80
        .size:           4
        .value_kind:     by_value
      - .address_space:  global
        .offset:         88
        .size:           8
        .value_kind:     global_buffer
      - .address_space:  global
        .offset:         96
        .size:           8
        .value_kind:     global_buffer
    .group_segment_fixed_size: 9720
    .kernarg_segment_align: 8
    .kernarg_segment_size: 104
    .language:       OpenCL C
    .language_version:
      - 2
      - 0
    .max_flat_workgroup_size: 243
    .name:           bluestein_single_fwd_len1215_dim1_sp_op_CI_CI
    .private_segment_fixed_size: 0
    .sgpr_count:     24
    .sgpr_spill_count: 0
    .symbol:         bluestein_single_fwd_len1215_dim1_sp_op_CI_CI.kd
    .uniform_work_group_size: 1
    .uses_dynamic_stack: false
    .vgpr_count:     89
    .vgpr_spill_count: 0
    .wavefront_size: 64
amdhsa.target:   amdgcn-amd-amdhsa--gfx906
amdhsa.version:
  - 1
  - 2
...

	.end_amdgpu_metadata
